;; amdgpu-corpus repo=ROCm/rocFFT kind=compiled arch=gfx906 opt=O3
	.text
	.amdgcn_target "amdgcn-amd-amdhsa--gfx906"
	.amdhsa_code_object_version 6
	.protected	bluestein_single_back_len96_dim1_sp_op_CI_CI ; -- Begin function bluestein_single_back_len96_dim1_sp_op_CI_CI
	.globl	bluestein_single_back_len96_dim1_sp_op_CI_CI
	.p2align	8
	.type	bluestein_single_back_len96_dim1_sp_op_CI_CI,@function
bluestein_single_back_len96_dim1_sp_op_CI_CI: ; @bluestein_single_back_len96_dim1_sp_op_CI_CI
; %bb.0:
	s_load_dwordx4 s[12:15], s[4:5], 0x28
	v_lshrrev_b32_e32 v1, 4, v0
	v_lshl_or_b32 v66, s6, 3, v1
	v_mov_b32_e32 v67, 0
	s_waitcnt lgkmcnt(0)
	v_cmp_gt_u64_e32 vcc, s[12:13], v[66:67]
	s_and_saveexec_b64 s[0:1], vcc
	s_cbranch_execz .LBB0_10
; %bb.1:
	s_load_dwordx4 s[0:3], s[4:5], 0x18
	s_load_dwordx4 s[8:11], s[4:5], 0x0
	v_and_b32_e32 v78, 15, v0
	v_lshlrev_b32_e32 v80, 3, v78
	v_mul_u32_u24_e32 v82, 0x60, v1
	s_waitcnt lgkmcnt(0)
	s_load_dwordx4 s[16:19], s[0:1], 0x0
	global_load_dwordx2 v[71:72], v80, s[8:9]
	v_lshl_or_b32 v77, v82, 3, v80
	s_load_dwordx2 s[4:5], s[4:5], 0x38
	v_mov_b32_e32 v16, s9
	s_waitcnt lgkmcnt(0)
	v_mad_u64_u32 v[2:3], s[0:1], s18, v66, 0
	v_mad_u64_u32 v[4:5], s[0:1], s16, v78, 0
	v_mov_b32_e32 v0, v3
                                        ; implicit-def: $vgpr42
                                        ; implicit-def: $vgpr46
                                        ; implicit-def: $vgpr50
                                        ; implicit-def: $vgpr54
                                        ; implicit-def: $vgpr58
	v_mov_b32_e32 v3, v5
	v_mad_u64_u32 v[5:6], s[0:1], s19, v66, v[0:1]
	v_mad_u64_u32 v[6:7], s[0:1], s17, v78, v[3:4]
	v_mov_b32_e32 v3, v5
	v_lshlrev_b64 v[2:3], 3, v[2:3]
	v_mov_b32_e32 v5, v6
	v_mov_b32_e32 v0, s15
	v_lshlrev_b64 v[4:5], 3, v[4:5]
	v_add_co_u32_e32 v2, vcc, s14, v2
	v_addc_co_u32_e32 v0, vcc, v0, v3, vcc
	v_add_co_u32_e32 v2, vcc, v2, v4
	v_addc_co_u32_e32 v3, vcc, v0, v5, vcc
	s_lshl_b64 s[0:1], s[16:17], 7
	global_load_dwordx2 v[4:5], v[2:3], off
	v_mov_b32_e32 v0, s1
	v_add_co_u32_e32 v2, vcc, s0, v2
	v_addc_co_u32_e32 v3, vcc, v3, v0, vcc
	global_load_dwordx2 v[6:7], v[2:3], off
	v_add_co_u32_e32 v2, vcc, s0, v2
	v_addc_co_u32_e32 v3, vcc, v3, v0, vcc
	v_add_co_u32_e32 v8, vcc, s0, v2
	v_addc_co_u32_e32 v9, vcc, v3, v0, vcc
	global_load_dwordx2 v[69:70], v80, s[8:9] offset:128
	global_load_dwordx2 v[67:68], v80, s[8:9] offset:256
	global_load_dwordx2 v[10:11], v[2:3], off
	global_load_dwordx2 v[12:13], v[8:9], off
	global_load_dwordx2 v[64:65], v80, s[8:9] offset:384
	v_add_co_u32_e32 v2, vcc, s0, v8
	v_addc_co_u32_e32 v3, vcc, v9, v0, vcc
	global_load_dwordx2 v[8:9], v[2:3], off
	global_load_dwordx2 v[60:61], v80, s[8:9] offset:512
	v_add_co_u32_e32 v2, vcc, s0, v2
	v_addc_co_u32_e32 v3, vcc, v3, v0, vcc
	global_load_dwordx2 v[62:63], v80, s[8:9] offset:640
	global_load_dwordx2 v[14:15], v[2:3], off
	v_or_b32_e32 v0, v82, v78
	v_lshlrev_b32_e32 v79, 3, v0
	s_load_dwordx4 s[0:3], s[2:3], 0x0
	v_add_co_u32_e32 v75, vcc, s8, v80
	v_addc_co_u32_e32 v76, vcc, 0, v16, vcc
	v_cmp_gt_u32_e32 vcc, 6, v78
	s_waitcnt vmcnt(10)
	v_mul_f32_e32 v0, v5, v72
	v_mul_f32_e32 v1, v4, v72
	v_fmac_f32_e32 v0, v4, v71
	v_fma_f32 v1, v5, v71, -v1
	s_waitcnt vmcnt(8)
	v_mul_f32_e32 v2, v7, v70
	v_mul_f32_e32 v3, v6, v70
	v_fmac_f32_e32 v2, v6, v69
	v_fma_f32 v3, v7, v69, -v3
	s_waitcnt vmcnt(6)
	v_mul_f32_e32 v4, v11, v68
	v_mul_f32_e32 v5, v10, v68
	ds_write2_b64 v79, v[0:1], v[2:3] offset1:16
	s_waitcnt vmcnt(4)
	v_mul_f32_e32 v0, v13, v65
	v_mul_f32_e32 v1, v12, v65
	v_fmac_f32_e32 v4, v10, v67
	v_fma_f32 v5, v11, v67, -v5
	v_fmac_f32_e32 v0, v12, v64
	v_fma_f32 v1, v13, v64, -v1
	s_waitcnt vmcnt(2)
	v_mul_f32_e32 v2, v9, v61
	v_mul_f32_e32 v3, v8, v61
	ds_write2_b64 v77, v[4:5], v[0:1] offset0:32 offset1:48
	s_waitcnt vmcnt(0)
	v_mul_f32_e32 v0, v15, v63
	v_mul_f32_e32 v1, v14, v63
	v_fmac_f32_e32 v2, v8, v60
	v_fma_f32 v3, v9, v60, -v3
	v_fmac_f32_e32 v0, v14, v62
	v_fma_f32 v1, v15, v62, -v1
	ds_write2_b64 v77, v[2:3], v[0:1] offset0:64 offset1:80
	s_waitcnt lgkmcnt(0)
	s_barrier
	ds_read2_b64 v[0:3], v79 offset1:16
	ds_read2_b64 v[4:7], v77 offset0:32 offset1:48
	ds_read2_b64 v[8:11], v77 offset0:64 offset1:80
	s_waitcnt lgkmcnt(0)
	s_barrier
	v_add_f32_e32 v15, v1, v5
	v_sub_f32_e32 v14, v5, v9
	v_add_f32_e32 v5, v5, v9
	v_add_f32_e32 v12, v0, v4
	;; [unrolled: 1-line block ×3, first 2 shown]
	v_fma_f32 v1, -0.5, v5, v1
	v_sub_f32_e32 v4, v4, v8
	v_add_f32_e32 v8, v12, v8
	v_fma_f32 v0, -0.5, v13, v0
	v_mov_b32_e32 v12, v1
	v_add_f32_e32 v13, v6, v10
	v_mov_b32_e32 v5, v0
	v_fmac_f32_e32 v12, 0xbf5db3d7, v4
	v_fmac_f32_e32 v1, 0x3f5db3d7, v4
	v_add_f32_e32 v4, v2, v6
	v_fma_f32 v2, -0.5, v13, v2
	v_fmac_f32_e32 v0, 0xbf5db3d7, v14
	v_fmac_f32_e32 v5, 0x3f5db3d7, v14
	v_sub_f32_e32 v13, v7, v11
	v_mov_b32_e32 v14, v2
	v_fmac_f32_e32 v14, 0x3f5db3d7, v13
	v_fmac_f32_e32 v2, 0xbf5db3d7, v13
	v_add_f32_e32 v13, v3, v7
	v_add_f32_e32 v7, v7, v11
	v_fmac_f32_e32 v3, -0.5, v7
	v_sub_f32_e32 v6, v6, v10
	v_mov_b32_e32 v7, v3
	v_add_f32_e32 v4, v4, v10
	v_fmac_f32_e32 v7, 0xbf5db3d7, v6
	v_fmac_f32_e32 v3, 0x3f5db3d7, v6
	v_mul_f32_e32 v10, -0.5, v2
	v_add_f32_e32 v13, v13, v11
	v_mul_f32_e32 v6, 0x3f5db3d7, v7
	v_fmac_f32_e32 v10, 0x3f5db3d7, v3
	v_mul_f32_e32 v3, -0.5, v3
	v_mul_f32_e32 v11, 0xbf5db3d7, v14
	v_add_f32_e32 v9, v15, v9
	v_fmac_f32_e32 v6, 0.5, v14
	v_add_f32_e32 v32, v0, v10
	v_fmac_f32_e32 v11, 0.5, v7
	v_fmac_f32_e32 v3, 0xbf5db3d7, v2
	v_sub_f32_e32 v38, v0, v10
	v_mul_u32_u24_e32 v0, 6, v78
	v_add_f32_e32 v28, v8, v4
	v_add_f32_e32 v30, v5, v6
	;; [unrolled: 1-line block ×5, first 2 shown]
	v_sub_f32_e32 v34, v8, v4
	v_sub_f32_e32 v36, v5, v6
	;; [unrolled: 1-line block ×5, first 2 shown]
	v_add_lshl_u32 v81, v82, v0, 3
	ds_write_b128 v81, v[28:31]
	ds_write_b128 v81, v[32:35] offset:16
	ds_write_b128 v81, v[36:39] offset:32
	s_waitcnt lgkmcnt(0)
	s_barrier
	s_and_saveexec_b64 s[6:7], vcc
	s_cbranch_execz .LBB0_3
; %bb.2:
	ds_read2_b64 v[28:31], v79 offset1:6
	ds_read2_b64 v[32:35], v79 offset0:12 offset1:18
	ds_read2_b64 v[36:39], v79 offset0:24 offset1:30
	;; [unrolled: 1-line block ×7, first 2 shown]
.LBB0_3:
	s_or_b64 exec, exec, s[6:7]
	v_mul_lo_u16_e32 v0, 43, v78
	v_mov_b32_e32 v1, 6
	v_mul_lo_u16_sdwa v0, v0, v1 dst_sel:DWORD dst_unused:UNUSED_PAD src0_sel:BYTE_1 src1_sel:DWORD
	v_sub_u16_e32 v0, v78, v0
	v_mul_lo_u16_e32 v0, 15, v0
	v_mov_b32_e32 v1, 3
	v_lshlrev_b32_sdwa v83, v1, v0 dst_sel:DWORD dst_unused:UNUSED_PAD src0_sel:DWORD src1_sel:BYTE_0
	global_load_dwordx4 v[8:11], v83, s[10:11]
	global_load_dwordx4 v[4:7], v83, s[10:11] offset:16
	global_load_dwordx4 v[12:15], v83, s[10:11] offset:32
	;; [unrolled: 1-line block ×6, first 2 shown]
	global_load_dwordx2 v[73:74], v83, s[10:11] offset:112
	s_waitcnt vmcnt(7) lgkmcnt(6)
	v_mul_f32_e32 v84, v32, v11
	s_waitcnt vmcnt(6)
	v_mul_f32_e32 v85, v35, v5
	v_mul_f32_e32 v86, v34, v5
	s_waitcnt lgkmcnt(5)
	v_mul_f32_e32 v87, v37, v7
	s_waitcnt vmcnt(5)
	v_mul_f32_e32 v89, v39, v13
	s_waitcnt vmcnt(4) lgkmcnt(3)
	v_mul_f32_e32 v95, v53, v3
	v_mul_f32_e32 v96, v52, v3
	s_waitcnt vmcnt(2) lgkmcnt(1)
	v_mul_f32_e32 v103, v45, v23
	v_mul_f32_e32 v83, v33, v11
	;; [unrolled: 1-line block ×7, first 2 shown]
	s_waitcnt vmcnt(1) lgkmcnt(0)
	v_mul_f32_e32 v107, v41, v27
	v_mul_f32_e32 v108, v40, v27
	s_waitcnt vmcnt(0)
	v_mul_f32_e32 v109, v43, v74
	v_mul_f32_e32 v112, v30, v9
	v_fmac_f32_e32 v84, v33, v10
	v_fma_f32 v33, v34, v4, -v85
	v_fmac_f32_e32 v86, v35, v4
	v_fma_f32 v34, v36, v6, -v87
	v_fma_f32 v35, v38, v12, -v89
	;; [unrolled: 1-line block ×3, first 2 shown]
	v_fmac_f32_e32 v96, v53, v2
	v_fma_f32 v44, v44, v22, -v103
	v_mul_f32_e32 v92, v56, v15
	v_mul_f32_e32 v99, v49, v19
	;; [unrolled: 1-line block ×4, first 2 shown]
	v_fmac_f32_e32 v88, v37, v6
	v_fma_f32 v36, v56, v14, -v91
	v_fmac_f32_e32 v100, v49, v18
	v_fmac_f32_e32 v104, v45, v22
	v_fma_f32 v40, v40, v26, -v107
	v_fmac_f32_e32 v108, v41, v26
	v_fma_f32 v41, v42, v73, -v109
	v_fmac_f32_e32 v112, v31, v8
	v_sub_f32_e32 v31, v28, v38
	v_sub_f32_e32 v38, v29, v96
	;; [unrolled: 1-line block ×3, first 2 shown]
	v_mul_f32_e32 v106, v46, v25
	v_fma_f32 v32, v32, v10, -v83
	v_fmac_f32_e32 v92, v57, v14
	v_fma_f32 v48, v48, v18, -v99
	v_fmac_f32_e32 v110, v43, v73
	v_sub_f32_e32 v43, v88, v104
	v_sub_f32_e32 v45, v84, v100
	v_sub_f32_e32 v40, v36, v40
	v_fma_f32 v34, v34, 2.0, -v42
	v_add_f32_e32 v42, v38, v42
	v_mul_f32_e32 v101, v51, v21
	v_mul_f32_e32 v102, v50, v21
	;; [unrolled: 1-line block ×3, first 2 shown]
	v_fmac_f32_e32 v106, v47, v24
	v_sub_f32_e32 v44, v32, v48
	v_sub_f32_e32 v47, v92, v108
	v_fma_f32 v29, v29, 2.0, -v38
	v_fma_f32 v48, v88, 2.0, -v43
	;; [unrolled: 1-line block ×3, first 2 shown]
	v_sub_f32_e32 v43, v31, v43
	v_fma_f32 v38, v38, 2.0, -v42
	v_add_f32_e32 v40, v45, v40
	v_mul_f32_e32 v97, v55, v17
	v_fma_f32 v49, v50, v20, -v101
	v_fmac_f32_e32 v102, v51, v20
	v_fma_f32 v28, v28, 2.0, -v31
	v_fma_f32 v50, v84, 2.0, -v45
	v_fma_f32 v51, v92, 2.0, -v47
	v_fma_f32 v31, v31, 2.0, -v43
	v_sub_f32_e32 v47, v44, v47
	v_fma_f32 v53, v45, 2.0, -v40
	v_mov_b32_e32 v45, v38
	v_mul_f32_e32 v94, v58, v1
	v_mul_f32_e32 v98, v54, v17
	v_fmac_f32_e32 v90, v39, v12
	v_fma_f32 v39, v54, v16, -v97
	v_fma_f32 v30, v30, v8, -v111
	v_fma_f32 v32, v32, 2.0, -v44
	v_fma_f32 v52, v44, 2.0, -v47
	v_mov_b32_e32 v44, v31
	v_fmac_f32_e32 v45, 0xbf3504f3, v53
	v_mov_b32_e32 v83, v43
	v_mul_f32_e32 v93, v59, v1
	v_fmac_f32_e32 v94, v59, v0
	v_fmac_f32_e32 v98, v55, v16
	v_fma_f32 v46, v46, v24, -v105
	v_fmac_f32_e32 v44, 0xbf3504f3, v52
	v_fmac_f32_e32 v45, 0x3f3504f3, v52
	;; [unrolled: 1-line block ×3, first 2 shown]
	v_mov_b32_e32 v84, v42
	v_sub_f32_e32 v39, v30, v39
	v_sub_f32_e32 v52, v90, v106
	v_fma_f32 v37, v58, v0, -v93
	v_fmac_f32_e32 v84, 0x3f3504f3, v40
	v_fmac_f32_e32 v83, 0xbf3504f3, v40
	v_sub_f32_e32 v40, v112, v98
	v_sub_f32_e32 v46, v35, v46
	;; [unrolled: 1-line block ×5, first 2 shown]
	v_fma_f32 v30, v30, 2.0, -v39
	v_fma_f32 v35, v35, 2.0, -v46
	v_sub_f32_e32 v54, v86, v102
	v_sub_f32_e32 v41, v37, v41
	v_add_f32_e32 v59, v40, v46
	v_fma_f32 v39, v39, 2.0, -v58
	v_sub_f32_e32 v46, v49, v56
	v_fmac_f32_e32 v84, 0x3f3504f3, v47
	v_fma_f32 v47, v112, 2.0, -v40
	v_fma_f32 v33, v33, 2.0, -v49
	;; [unrolled: 1-line block ×4, first 2 shown]
	v_add_f32_e32 v41, v54, v41
	v_fma_f32 v49, v49, 2.0, -v46
	v_mov_b32_e32 v85, v39
	v_mov_b32_e32 v87, v58
	v_fmac_f32_e32 v44, 0xbf3504f3, v53
	v_fma_f32 v53, v90, 2.0, -v52
	v_fma_f32 v55, v86, 2.0, -v54
	;; [unrolled: 1-line block ×4, first 2 shown]
	v_fmac_f32_e32 v85, 0xbf3504f3, v49
	v_mov_b32_e32 v86, v40
	v_fmac_f32_e32 v87, 0x3f3504f3, v46
	v_mov_b32_e32 v88, v59
	v_fmac_f32_e32 v86, 0xbf3504f3, v52
	v_fmac_f32_e32 v85, 0xbf3504f3, v52
	;; [unrolled: 1-line block ×4, first 2 shown]
	v_sub_f32_e32 v34, v28, v34
	v_sub_f32_e32 v41, v29, v48
	;; [unrolled: 1-line block ×8, first 2 shown]
	v_fmac_f32_e32 v88, 0x3f3504f3, v46
	v_fma_f32 v28, v28, 2.0, -v34
	v_fma_f32 v29, v29, 2.0, -v41
	;; [unrolled: 1-line block ×8, first 2 shown]
	v_fmac_f32_e32 v86, 0x3f3504f3, v49
	v_sub_f32_e32 v48, v28, v32
	v_sub_f32_e32 v49, v29, v46
	;; [unrolled: 1-line block ×4, first 2 shown]
	v_fma_f32 v46, v28, 2.0, -v48
	v_fma_f32 v47, v29, 2.0, -v49
	;; [unrolled: 1-line block ×6, first 2 shown]
	v_sub_f32_e32 v56, v46, v28
	v_sub_f32_e32 v57, v47, v29
	v_fma_f32 v30, v39, 2.0, -v85
	v_fma_f32 v31, v40, 2.0, -v86
	v_mov_b32_e32 v28, v50
	v_mov_b32_e32 v29, v51
	v_sub_f32_e32 v40, v34, v52
	v_add_f32_e32 v92, v41, v36
	v_fmac_f32_e32 v28, 0xbf6c835e, v30
	v_fmac_f32_e32 v29, 0xbf6c835e, v31
	v_fma_f32 v52, v34, 2.0, -v40
	v_fma_f32 v53, v41, 2.0, -v92
	v_sub_f32_e32 v41, v35, v89
	v_add_f32_e32 v89, v54, v37
	v_fmac_f32_e32 v28, 0xbec3ef15, v31
	v_fmac_f32_e32 v29, 0x3ec3ef15, v30
	v_fma_f32 v32, v35, 2.0, -v41
	v_fma_f32 v33, v54, 2.0, -v89
	v_mov_b32_e32 v30, v52
	v_mov_b32_e32 v31, v53
	v_fmac_f32_e32 v30, 0xbf3504f3, v32
	v_fmac_f32_e32 v31, 0xbf3504f3, v33
	v_fma_f32 v54, v43, 2.0, -v83
	v_fma_f32 v55, v42, 2.0, -v84
	;; [unrolled: 1-line block ×4, first 2 shown]
	v_mov_b32_e32 v38, v40
	v_mov_b32_e32 v39, v92
	;; [unrolled: 1-line block ×4, first 2 shown]
	v_fmac_f32_e32 v30, 0xbf3504f3, v33
	v_fmac_f32_e32 v31, 0x3f3504f3, v32
	v_mov_b32_e32 v32, v54
	v_mov_b32_e32 v33, v55
	;; [unrolled: 1-line block ×4, first 2 shown]
	v_fmac_f32_e32 v38, 0x3f3504f3, v41
	v_fmac_f32_e32 v39, 0x3f3504f3, v89
	;; [unrolled: 1-line block ×14, first 2 shown]
	v_sub_f32_e32 v34, v48, v91
	v_add_f32_e32 v35, v49, v90
	v_fmac_f32_e32 v36, 0xbf6c835e, v86
	v_fmac_f32_e32 v37, 0x3f6c835e, v85
	v_fma_f32 v40, v40, 2.0, -v38
	v_fma_f32 v41, v92, 2.0, -v39
	;; [unrolled: 1-line block ×4, first 2 shown]
	s_and_saveexec_b64 s[6:7], vcc
	s_cbranch_execz .LBB0_5
; %bb.4:
	v_fma_f32 v51, v51, 2.0, -v29
	v_fma_f32 v50, v50, 2.0, -v28
	;; [unrolled: 1-line block ×12, first 2 shown]
	ds_write2_b64 v79, v[46:47], v[50:51] offset1:6
	ds_write2_b64 v79, v[52:53], v[54:55] offset0:12 offset1:18
	ds_write_b64 v79, v[48:49] offset:192
	ds_write2_b64 v77, v[44:45], v[40:41] offset0:30 offset1:36
	ds_write2_b64 v77, v[42:43], v[56:57] offset0:42 offset1:48
	;; [unrolled: 1-line block ×5, first 2 shown]
	ds_write_b64 v77, v[58:59] offset:720
.LBB0_5:
	s_or_b64 exec, exec, s[6:7]
	s_waitcnt lgkmcnt(0)
	s_barrier
	global_load_dwordx2 v[48:49], v[75:76], off offset:768
	s_add_u32 s6, s8, 0x300
	s_addc_u32 s7, s9, 0
	global_load_dwordx2 v[50:51], v80, s[6:7] offset:128
	global_load_dwordx2 v[52:53], v80, s[6:7] offset:256
	;; [unrolled: 1-line block ×5, first 2 shown]
	ds_read2_b64 v[44:47], v79 offset1:16
	s_waitcnt vmcnt(5) lgkmcnt(0)
	v_mul_f32_e32 v75, v45, v49
	v_mul_f32_e32 v76, v44, v49
	v_fma_f32 v75, v44, v48, -v75
	v_fmac_f32_e32 v76, v45, v48
	s_waitcnt vmcnt(4)
	v_mul_f32_e32 v44, v47, v51
	v_mul_f32_e32 v45, v46, v51
	v_fma_f32 v44, v46, v50, -v44
	v_fmac_f32_e32 v45, v47, v50
	ds_write2_b64 v79, v[75:76], v[44:45] offset1:16
	ds_read2_b64 v[44:47], v77 offset0:32 offset1:64
	v_lshl_add_u32 v75, v82, 3, v80
	ds_read_b64 v[48:49], v75 offset:384
	ds_read_b64 v[50:51], v77 offset:640
	s_waitcnt vmcnt(3) lgkmcnt(2)
	v_mul_f32_e32 v76, v45, v53
	v_mul_f32_e32 v87, v44, v53
	s_waitcnt vmcnt(2) lgkmcnt(1)
	v_mul_f32_e32 v80, v49, v55
	v_mul_f32_e32 v53, v48, v55
	s_waitcnt vmcnt(1)
	v_mul_f32_e32 v82, v47, v84
	v_mul_f32_e32 v55, v46, v84
	s_waitcnt vmcnt(0) lgkmcnt(0)
	v_mul_f32_e32 v88, v51, v86
	v_mul_f32_e32 v84, v50, v86
	v_fma_f32 v86, v44, v52, -v76
	v_fmac_f32_e32 v87, v45, v52
	v_fma_f32 v52, v48, v54, -v80
	v_fmac_f32_e32 v53, v49, v54
	;; [unrolled: 2-line block ×4, first 2 shown]
	ds_write_b64 v75, v[52:53] offset:384
	ds_write2_b64 v77, v[86:87], v[54:55] offset0:32 offset1:64
	ds_write_b64 v77, v[83:84] offset:640
	s_waitcnt lgkmcnt(0)
	s_barrier
	ds_read2_b64 v[44:47], v79 offset1:16
	ds_read2_b64 v[48:51], v77 offset0:32 offset1:64
	ds_read_b64 v[52:53], v75 offset:384
	ds_read_b64 v[54:55], v77 offset:640
	s_waitcnt lgkmcnt(0)
	s_barrier
	v_add_f32_e32 v76, v44, v48
	v_add_f32_e32 v87, v47, v53
	v_sub_f32_e32 v86, v53, v55
	v_add_f32_e32 v53, v53, v55
	v_add_f32_e32 v80, v48, v50
	v_sub_f32_e32 v82, v49, v51
	v_add_f32_e32 v83, v45, v49
	v_add_f32_e32 v49, v49, v51
	;; [unrolled: 1-line block ×4, first 2 shown]
	v_fmac_f32_e32 v47, -0.5, v53
	v_sub_f32_e32 v48, v48, v50
	v_sub_f32_e32 v52, v52, v54
	v_add_f32_e32 v50, v76, v50
	v_fma_f32 v76, -0.5, v80, v44
	v_fma_f32 v49, -0.5, v49, v45
	v_add_f32_e32 v54, v84, v54
	v_fma_f32 v46, -0.5, v85, v46
	v_mov_b32_e32 v84, v47
	v_add_f32_e32 v51, v83, v51
	v_mov_b32_e32 v80, v76
	v_mov_b32_e32 v83, v49
	;; [unrolled: 1-line block ×3, first 2 shown]
	v_fmac_f32_e32 v47, 0xbf5db3d7, v52
	v_fmac_f32_e32 v84, 0x3f5db3d7, v52
	v_fmac_f32_e32 v76, 0x3f5db3d7, v82
	v_fmac_f32_e32 v49, 0xbf5db3d7, v48
	v_fmac_f32_e32 v46, 0x3f5db3d7, v86
	v_fmac_f32_e32 v80, 0xbf5db3d7, v82
	v_fmac_f32_e32 v83, 0x3f5db3d7, v48
	v_fmac_f32_e32 v53, 0xbf5db3d7, v86
	v_mul_f32_e32 v48, 0xbf5db3d7, v47
	v_mul_f32_e32 v47, -0.5, v47
	v_mul_f32_e32 v82, 0xbf5db3d7, v84
	v_mul_f32_e32 v84, 0.5, v84
	v_add_f32_e32 v55, v87, v55
	v_fmac_f32_e32 v48, -0.5, v46
	v_fmac_f32_e32 v47, 0x3f5db3d7, v46
	v_fmac_f32_e32 v82, 0.5, v53
	v_fmac_f32_e32 v84, 0x3f5db3d7, v53
	v_add_f32_e32 v44, v50, v54
	v_add_f32_e32 v45, v51, v55
	v_sub_f32_e32 v54, v50, v54
	v_sub_f32_e32 v55, v51, v55
	v_add_f32_e32 v52, v76, v48
	v_add_f32_e32 v53, v49, v47
	v_sub_f32_e32 v50, v76, v48
	v_sub_f32_e32 v51, v49, v47
	;; [unrolled: 4-line block ×3, first 2 shown]
	ds_write_b128 v81, v[44:47]
	ds_write_b128 v81, v[52:55] offset:16
	ds_write_b128 v81, v[48:51] offset:32
	s_waitcnt lgkmcnt(0)
	s_barrier
	s_and_saveexec_b64 s[6:7], vcc
	s_cbranch_execz .LBB0_7
; %bb.6:
	ds_read2_b64 v[44:47], v79 offset1:6
	ds_read2_b64 v[52:55], v79 offset0:12 offset1:18
	ds_read2_b64 v[48:51], v79 offset0:24 offset1:30
	;; [unrolled: 1-line block ×6, first 2 shown]
	ds_read_b64 v[56:57], v75 offset:384
	ds_read_b64 v[58:59], v79 offset:720
.LBB0_7:
	s_or_b64 exec, exec, s[6:7]
	s_and_saveexec_b64 s[6:7], vcc
	s_cbranch_execz .LBB0_9
; %bb.8:
	s_waitcnt lgkmcnt(5)
	v_mul_f32_e32 v81, v15, v41
	v_mul_f32_e32 v15, v15, v40
	v_fmac_f32_e32 v81, v14, v40
	s_waitcnt lgkmcnt(2)
	v_mul_f32_e32 v82, v27, v39
	v_fma_f32 v14, v14, v41, -v15
	v_mul_f32_e32 v15, v27, v38
	v_mul_f32_e32 v27, v1, v43
	;; [unrolled: 1-line block ×3, first 2 shown]
	v_fmac_f32_e32 v27, v0, v42
	v_fma_f32 v42, v0, v43, -v1
	s_waitcnt lgkmcnt(0)
	v_mul_f32_e32 v0, v74, v58
	v_mul_f32_e32 v76, v11, v52
	;; [unrolled: 1-line block ×3, first 2 shown]
	v_fma_f32 v0, v73, v59, -v0
	v_fma_f32 v76, v10, v53, -v76
	v_mul_f32_e32 v80, v19, v30
	v_fmac_f32_e32 v11, v10, v52
	v_mul_f32_e32 v10, v19, v31
	v_mul_f32_e32 v19, v5, v54
	v_sub_f32_e32 v43, v42, v0
	v_mul_f32_e32 v5, v5, v55
	v_mul_f32_e32 v0, v21, v33
	v_fmac_f32_e32 v82, v26, v38
	v_fma_f32 v15, v26, v39, -v15
	v_mul_f32_e32 v26, v21, v32
	v_fmac_f32_e32 v5, v4, v54
	v_fmac_f32_e32 v0, v20, v32
	v_fma_f32 v26, v20, v33, -v26
	v_mul_f32_e32 v40, v13, v51
	v_sub_f32_e32 v20, v5, v0
	v_mul_f32_e32 v0, v13, v50
	v_fmac_f32_e32 v40, v12, v50
	v_fma_f32 v12, v12, v51, -v0
	v_mul_f32_e32 v0, v25, v36
	v_fma_f32 v0, v24, v37, -v0
	v_mul_f32_e32 v38, v9, v46
	v_sub_f32_e32 v13, v12, v0
	v_mul_f32_e32 v9, v9, v47
	v_mul_f32_e32 v0, v17, v29
	;; [unrolled: 1-line block ×3, first 2 shown]
	v_fmac_f32_e32 v9, v8, v46
	v_fmac_f32_e32 v0, v16, v28
	v_mul_f32_e32 v85, v7, v49
	v_fma_f32 v39, v16, v29, -v39
	v_sub_f32_e32 v16, v9, v0
	v_mul_f32_e32 v0, v7, v48
	v_mul_f32_e32 v84, v3, v56
	v_fmac_f32_e32 v85, v6, v48
	v_fma_f32 v6, v6, v49, -v0
	v_mul_f32_e32 v0, v23, v34
	v_fma_f32 v84, v2, v57, -v84
	v_fma_f32 v0, v22, v35, -v0
	v_sub_f32_e32 v84, v45, v84
	v_fmac_f32_e32 v10, v18, v30
	v_mul_f32_e32 v30, v74, v59
	v_sub_f32_e32 v7, v6, v0
	v_sub_f32_e32 v82, v81, v82
	;; [unrolled: 1-line block ×3, first 2 shown]
	v_fmac_f32_e32 v30, v73, v58
	v_mul_f32_e32 v41, v25, v37
	v_fma_f32 v25, v45, 2.0, -v84
	v_fma_f32 v6, v6, 2.0, -v7
	v_fma_f32 v19, v4, v55, -v19
	v_sub_f32_e32 v30, v27, v30
	v_sub_f32_e32 v28, v25, v6
	v_fma_f32 v29, v11, 2.0, -v10
	v_fma_f32 v6, v81, 2.0, -v82
	v_mul_f32_e32 v86, v23, v35
	v_sub_f32_e32 v26, v19, v26
	v_fmac_f32_e32 v41, v24, v36
	v_add_f32_e32 v17, v13, v16
	v_sub_f32_e32 v32, v29, v6
	v_fma_f32 v6, v12, 2.0, -v13
	v_fma_f32 v13, v5, 2.0, -v20
	;; [unrolled: 1-line block ×3, first 2 shown]
	v_fma_f32 v80, v18, v31, -v80
	v_fmac_f32_e32 v86, v22, v34
	v_fma_f32 v38, v8, v47, -v38
	v_sub_f32_e32 v41, v40, v41
	v_mul_f32_e32 v0, v3, v57
	v_sub_f32_e32 v27, v13, v5
	v_fma_f32 v19, v19, 2.0, -v26
	v_fma_f32 v5, v42, 2.0, -v43
	v_sub_f32_e32 v80, v76, v80
	v_sub_f32_e32 v86, v85, v86
	;; [unrolled: 1-line block ×4, first 2 shown]
	v_fmac_f32_e32 v0, v2, v56
	v_sub_f32_e32 v36, v19, v5
	v_fma_f32 v37, v9, 2.0, -v16
	v_fma_f32 v5, v40, 2.0, -v41
	v_sub_f32_e32 v87, v84, v86
	v_sub_f32_e32 v52, v39, v41
	;; [unrolled: 1-line block ×3, first 2 shown]
	v_fma_f32 v34, v38, 2.0, -v39
	v_sub_f32_e32 v38, v37, v5
	v_fma_f32 v41, v76, 2.0, -v80
	v_fma_f32 v5, v14, 2.0, -v15
	v_sub_f32_e32 v83, v80, v82
	v_mov_b32_e32 v88, v87
	v_add_f32_e32 v18, v15, v10
	v_add_f32_e32 v21, v43, v20
	v_mov_b32_e32 v24, v17
	v_add_f32_e32 v22, v7, v2
	v_sub_f32_e32 v14, v41, v5
	v_fma_f32 v15, v44, 2.0, -v2
	v_fma_f32 v5, v85, 2.0, -v86
	v_fmac_f32_e32 v88, 0x3f3504f3, v83
	v_sub_f32_e32 v31, v26, v30
	v_mov_b32_e32 v53, v52
	v_fmac_f32_e32 v24, 0x3f3504f3, v21
	v_mov_b32_e32 v23, v22
	v_sub_f32_e32 v42, v15, v5
	v_fma_f32 v39, v39, 2.0, -v52
	v_fma_f32 v37, v37, 2.0, -v38
	;; [unrolled: 1-line block ×3, first 2 shown]
	v_fmac_f32_e32 v88, 0xbf3504f3, v18
	v_fmac_f32_e32 v53, 0x3f3504f3, v31
	;; [unrolled: 1-line block ×4, first 2 shown]
	v_fma_f32 v12, v26, 2.0, -v31
	v_mov_b32_e32 v26, v39
	v_fma_f32 v31, v16, 2.0, -v17
	v_sub_f32_e32 v49, v37, v13
	v_fma_f32 v50, v15, 2.0, -v42
	v_fma_f32 v13, v29, 2.0, -v32
	v_fmac_f32_e32 v53, 0xbf3504f3, v21
	v_mov_b32_e32 v1, v88
	v_fmac_f32_e32 v23, 0x3f3504f3, v83
	v_fma_f32 v11, v10, 2.0, -v18
	v_fmac_f32_e32 v26, 0xbf3504f3, v12
	v_fma_f32 v18, v20, 2.0, -v21
	v_mov_b32_e32 v46, v31
	v_sub_f32_e32 v29, v50, v13
	v_fma_f32 v13, v19, 2.0, -v36
	v_fma_f32 v19, v87, 2.0, -v88
	v_fmac_f32_e32 v1, 0x3f6c835e, v53
	v_mov_b32_e32 v0, v23
	v_fmac_f32_e32 v26, 0xbf3504f3, v18
	v_fmac_f32_e32 v46, 0xbf3504f3, v18
	v_fma_f32 v21, v52, 2.0, -v53
	v_mov_b32_e32 v18, v19
	v_fmac_f32_e32 v1, 0xbec3ef15, v24
	v_fmac_f32_e32 v0, 0x3f6c835e, v24
	;; [unrolled: 1-line block ×3, first 2 shown]
	v_fma_f32 v24, v17, 2.0, -v24
	v_fmac_f32_e32 v18, 0xbf6c835e, v24
	v_fma_f32 v20, v19, 2.0, -v18
	v_fma_f32 v19, v22, 2.0, -v23
	v_mov_b32_e32 v17, v19
	v_sub_f32_e32 v33, v28, v32
	v_sub_f32_e32 v35, v34, v6
	v_fmac_f32_e32 v17, 0xbec3ef15, v24
	v_fmac_f32_e32 v0, 0x3ec3ef15, v53
	v_sub_f32_e32 v30, v35, v27
	v_fmac_f32_e32 v17, 0x3f6c835e, v21
	v_fma_f32 v21, v28, 2.0, -v33
	v_fma_f32 v3, v23, 2.0, -v0
	v_add_f32_e32 v40, v36, v38
	v_fma_f32 v2, v2, 2.0, -v22
	v_fma_f32 v23, v35, 2.0, -v30
	v_mov_b32_e32 v22, v21
	v_add_f32_e32 v43, v14, v42
	v_fma_f32 v44, v84, 2.0, -v87
	v_mov_b32_e32 v47, v2
	v_fma_f32 v48, v25, 2.0, -v28
	v_fmac_f32_e32 v22, 0xbf3504f3, v23
	v_fma_f32 v25, v38, 2.0, -v40
	v_fma_f32 v9, v80, 2.0, -v83
	v_mov_b32_e32 v45, v44
	v_fmac_f32_e32 v47, 0xbf3504f3, v11
	v_fmac_f32_e32 v22, 0xbf3504f3, v25
	v_fma_f32 v27, v42, 2.0, -v43
	v_fmac_f32_e32 v45, 0xbf3504f3, v9
	v_fmac_f32_e32 v47, 0x3f3504f3, v9
	v_fma_f32 v24, v21, 2.0, -v22
	v_mov_b32_e32 v21, v27
	v_fmac_f32_e32 v45, 0xbf3504f3, v11
	v_fmac_f32_e32 v46, 0x3f3504f3, v12
	v_mov_b32_e32 v9, v47
	v_fmac_f32_e32 v21, 0xbf3504f3, v25
	v_mov_b32_e32 v5, v43
	v_mov_b32_e32 v10, v45
	v_fmac_f32_e32 v9, 0x3ec3ef15, v46
	v_fmac_f32_e32 v21, 0x3f3504f3, v23
	v_fma_f32 v25, v44, 2.0, -v45
	v_mov_b32_e32 v6, v33
	v_fmac_f32_e32 v5, 0x3f3504f3, v40
	v_fmac_f32_e32 v10, 0x3ec3ef15, v26
	;; [unrolled: 1-line block ×3, first 2 shown]
	v_fma_f32 v23, v27, 2.0, -v21
	v_fma_f32 v27, v39, 2.0, -v26
	v_mov_b32_e32 v26, v25
	v_fmac_f32_e32 v6, 0x3f3504f3, v30
	v_fmac_f32_e32 v5, 0x3f3504f3, v30
	;; [unrolled: 1-line block ×3, first 2 shown]
	v_fma_f32 v30, v31, 2.0, -v46
	v_fmac_f32_e32 v26, 0xbec3ef15, v30
	v_fma_f32 v2, v2, 2.0, -v47
	v_fma_f32 v28, v25, 2.0, -v26
	v_mov_b32_e32 v25, v2
	v_fma_f32 v14, v41, 2.0, -v14
	v_fma_f32 v32, v34, 2.0, -v35
	v_fmac_f32_e32 v25, 0xbf6c835e, v30
	v_sub_f32_e32 v41, v48, v14
	v_sub_f32_e32 v34, v32, v13
	v_fmac_f32_e32 v25, 0x3ec3ef15, v27
	v_fma_f32 v27, v2, 2.0, -v25
	v_fma_f32 v2, v48, 2.0, -v41
	;; [unrolled: 1-line block ×3, first 2 shown]
	v_add_f32_e32 v13, v29, v34
	v_sub_f32_e32 v30, v2, v30
	v_fma_f32 v15, v29, 2.0, -v13
	v_fma_f32 v32, v2, 2.0, -v30
	;; [unrolled: 1-line block ×4, first 2 shown]
	v_sub_f32_e32 v29, v2, v29
	v_fmac_f32_e32 v6, 0xbf3504f3, v40
	v_fmac_f32_e32 v10, 0xbf6c835e, v46
	v_sub_f32_e32 v14, v41, v49
	v_fma_f32 v31, v2, 2.0, -v29
	v_fma_f32 v4, v88, 2.0, -v1
	;; [unrolled: 1-line block ×8, first 2 shown]
	ds_write2_b64 v79, v[31:32], v[27:28] offset1:6
	ds_write2_b64 v79, v[23:24], v[19:20] offset0:12 offset1:18
	ds_write_b64 v79, v[15:16] offset:192
	ds_write2_b64 v77, v[11:12], v[7:8] offset0:30 offset1:36
	ds_write_b64 v77, v[3:4] offset:336
	ds_write_b64 v75, v[29:30] offset:384
	ds_write2_b64 v77, v[25:26], v[21:22] offset0:54 offset1:60
	ds_write2_b64 v77, v[17:18], v[13:14] offset0:66 offset1:72
	ds_write2_b64 v77, v[9:10], v[5:6] offset0:78 offset1:84
	ds_write_b64 v77, v[0:1] offset:720
.LBB0_9:
	s_or_b64 exec, exec, s[6:7]
	s_waitcnt lgkmcnt(0)
	s_barrier
	ds_read2_b64 v[0:3], v79 offset1:16
	v_mad_u64_u32 v[4:5], s[6:7], s2, v66, 0
	s_mov_b32 s6, 0x55555555
	s_mov_b32 s7, 0x3f855555
	s_waitcnt lgkmcnt(0)
	v_mul_f32_e32 v6, v72, v1
	v_fmac_f32_e32 v6, v71, v0
	v_cvt_f64_f32_e32 v[6:7], v6
	v_mul_f32_e32 v0, v72, v0
	v_fma_f32 v0, v71, v1, -v0
	v_cvt_f64_f32_e32 v[0:1], v0
	v_mul_f64 v[6:7], v[6:7], s[6:7]
	v_mad_u64_u32 v[8:9], s[8:9], s0, v78, 0
	v_mul_f64 v[0:1], v[0:1], s[6:7]
	v_mad_u64_u32 v[10:11], s[2:3], s3, v66, v[5:6]
	v_mov_b32_e32 v5, v9
	v_mad_u64_u32 v[11:12], s[2:3], s1, v78, v[5:6]
	v_mov_b32_e32 v5, v10
	v_cvt_f32_f64_e32 v6, v[6:7]
	v_cvt_f32_f64_e32 v7, v[0:1]
	v_lshlrev_b64 v[0:1], 3, v[4:5]
	v_mul_f32_e32 v4, v70, v3
	v_fmac_f32_e32 v4, v69, v2
	v_mul_f32_e32 v2, v70, v2
	v_fma_f32 v2, v69, v3, -v2
	v_mov_b32_e32 v9, v11
	v_mov_b32_e32 v10, s5
	v_cvt_f64_f32_e32 v[4:5], v4
	v_cvt_f64_f32_e32 v[2:3], v2
	v_add_co_u32_e32 v11, vcc, s4, v0
	v_addc_co_u32_e32 v12, vcc, v10, v1, vcc
	v_lshlrev_b64 v[0:1], 3, v[8:9]
	v_mul_f64 v[4:5], v[4:5], s[6:7]
	v_add_co_u32_e32 v10, vcc, v11, v0
	v_mul_f64 v[8:9], v[2:3], s[6:7]
	v_addc_co_u32_e32 v11, vcc, v12, v1, vcc
	ds_read2_b64 v[0:3], v77 offset0:32 offset1:64
	global_store_dwordx2 v[10:11], v[6:7], off
	v_cvt_f32_f64_e32 v4, v[4:5]
	ds_read_b64 v[12:13], v77 offset:640
	s_lshl_b64 s[0:1], s[0:1], 7
	s_waitcnt lgkmcnt(1)
	v_mul_f32_e32 v6, v68, v1
	v_fmac_f32_e32 v6, v67, v0
	v_cvt_f64_f32_e32 v[6:7], v6
	v_cvt_f32_f64_e32 v5, v[8:9]
	ds_read_b64 v[8:9], v75 offset:384
	v_mul_f32_e32 v0, v68, v0
	v_fma_f32 v0, v67, v1, -v0
	v_cvt_f64_f32_e32 v[0:1], v0
	v_mul_f64 v[6:7], v[6:7], s[6:7]
	s_waitcnt lgkmcnt(0)
	v_mul_f32_e32 v14, v65, v9
	v_fmac_f32_e32 v14, v64, v8
	v_mul_f64 v[0:1], v[0:1], s[6:7]
	v_cvt_f64_f32_e32 v[14:15], v14
	v_mov_b32_e32 v16, s1
	v_add_co_u32_e32 v10, vcc, s0, v10
	v_addc_co_u32_e32 v11, vcc, v11, v16, vcc
	global_store_dwordx2 v[10:11], v[4:5], off
	v_cvt_f32_f64_e32 v4, v[6:7]
	v_mul_f64 v[6:7], v[14:15], s[6:7]
	v_mul_f32_e32 v8, v65, v8
	v_fma_f32 v8, v64, v9, -v8
	v_cvt_f64_f32_e32 v[8:9], v8
	v_cvt_f32_f64_e32 v5, v[0:1]
	v_add_co_u32_e32 v0, vcc, s0, v10
	v_addc_co_u32_e32 v1, vcc, v11, v16, vcc
	v_mul_f64 v[8:9], v[8:9], s[6:7]
	global_store_dwordx2 v[0:1], v[4:5], off
	v_cvt_f32_f64_e32 v4, v[6:7]
	v_mul_f32_e32 v6, v61, v3
	v_fmac_f32_e32 v6, v60, v2
	v_cvt_f64_f32_e32 v[6:7], v6
	v_mul_f32_e32 v2, v61, v2
	v_fma_f32 v2, v60, v3, -v2
	v_cvt_f32_f64_e32 v5, v[8:9]
	v_mul_f64 v[6:7], v[6:7], s[6:7]
	v_cvt_f64_f32_e32 v[2:3], v2
	v_mul_f32_e32 v8, v63, v13
	v_mul_f32_e32 v10, v63, v12
	v_fmac_f32_e32 v8, v62, v12
	v_fma_f32 v10, v62, v13, -v10
	v_cvt_f64_f32_e32 v[8:9], v8
	v_cvt_f64_f32_e32 v[10:11], v10
	v_add_co_u32_e32 v0, vcc, s0, v0
	v_mul_f64 v[2:3], v[2:3], s[6:7]
	v_addc_co_u32_e32 v1, vcc, v1, v16, vcc
	global_store_dwordx2 v[0:1], v[4:5], off
	v_cvt_f32_f64_e32 v4, v[6:7]
	v_mul_f64 v[6:7], v[8:9], s[6:7]
	v_mul_f64 v[8:9], v[10:11], s[6:7]
	v_add_co_u32_e32 v0, vcc, s0, v0
	v_cvt_f32_f64_e32 v5, v[2:3]
	v_addc_co_u32_e32 v1, vcc, v1, v16, vcc
	v_cvt_f32_f64_e32 v2, v[6:7]
	v_cvt_f32_f64_e32 v3, v[8:9]
	global_store_dwordx2 v[0:1], v[4:5], off
	v_add_co_u32_e32 v0, vcc, s0, v0
	v_addc_co_u32_e32 v1, vcc, v1, v16, vcc
	global_store_dwordx2 v[0:1], v[2:3], off
.LBB0_10:
	s_endpgm
	.section	.rodata,"a",@progbits
	.p2align	6, 0x0
	.amdhsa_kernel bluestein_single_back_len96_dim1_sp_op_CI_CI
		.amdhsa_group_segment_fixed_size 6144
		.amdhsa_private_segment_fixed_size 0
		.amdhsa_kernarg_size 104
		.amdhsa_user_sgpr_count 6
		.amdhsa_user_sgpr_private_segment_buffer 1
		.amdhsa_user_sgpr_dispatch_ptr 0
		.amdhsa_user_sgpr_queue_ptr 0
		.amdhsa_user_sgpr_kernarg_segment_ptr 1
		.amdhsa_user_sgpr_dispatch_id 0
		.amdhsa_user_sgpr_flat_scratch_init 0
		.amdhsa_user_sgpr_private_segment_size 0
		.amdhsa_uses_dynamic_stack 0
		.amdhsa_system_sgpr_private_segment_wavefront_offset 0
		.amdhsa_system_sgpr_workgroup_id_x 1
		.amdhsa_system_sgpr_workgroup_id_y 0
		.amdhsa_system_sgpr_workgroup_id_z 0
		.amdhsa_system_sgpr_workgroup_info 0
		.amdhsa_system_vgpr_workitem_id 0
		.amdhsa_next_free_vgpr 113
		.amdhsa_next_free_sgpr 20
		.amdhsa_reserve_vcc 1
		.amdhsa_reserve_flat_scratch 0
		.amdhsa_float_round_mode_32 0
		.amdhsa_float_round_mode_16_64 0
		.amdhsa_float_denorm_mode_32 3
		.amdhsa_float_denorm_mode_16_64 3
		.amdhsa_dx10_clamp 1
		.amdhsa_ieee_mode 1
		.amdhsa_fp16_overflow 0
		.amdhsa_exception_fp_ieee_invalid_op 0
		.amdhsa_exception_fp_denorm_src 0
		.amdhsa_exception_fp_ieee_div_zero 0
		.amdhsa_exception_fp_ieee_overflow 0
		.amdhsa_exception_fp_ieee_underflow 0
		.amdhsa_exception_fp_ieee_inexact 0
		.amdhsa_exception_int_div_zero 0
	.end_amdhsa_kernel
	.text
.Lfunc_end0:
	.size	bluestein_single_back_len96_dim1_sp_op_CI_CI, .Lfunc_end0-bluestein_single_back_len96_dim1_sp_op_CI_CI
                                        ; -- End function
	.section	.AMDGPU.csdata,"",@progbits
; Kernel info:
; codeLenInByte = 5332
; NumSgprs: 24
; NumVgprs: 113
; ScratchSize: 0
; MemoryBound: 0
; FloatMode: 240
; IeeeMode: 1
; LDSByteSize: 6144 bytes/workgroup (compile time only)
; SGPRBlocks: 2
; VGPRBlocks: 28
; NumSGPRsForWavesPerEU: 24
; NumVGPRsForWavesPerEU: 113
; Occupancy: 2
; WaveLimiterHint : 1
; COMPUTE_PGM_RSRC2:SCRATCH_EN: 0
; COMPUTE_PGM_RSRC2:USER_SGPR: 6
; COMPUTE_PGM_RSRC2:TRAP_HANDLER: 0
; COMPUTE_PGM_RSRC2:TGID_X_EN: 1
; COMPUTE_PGM_RSRC2:TGID_Y_EN: 0
; COMPUTE_PGM_RSRC2:TGID_Z_EN: 0
; COMPUTE_PGM_RSRC2:TIDIG_COMP_CNT: 0
	.type	__hip_cuid_91e83b46687726dc,@object ; @__hip_cuid_91e83b46687726dc
	.section	.bss,"aw",@nobits
	.globl	__hip_cuid_91e83b46687726dc
__hip_cuid_91e83b46687726dc:
	.byte	0                               ; 0x0
	.size	__hip_cuid_91e83b46687726dc, 1

	.ident	"AMD clang version 19.0.0git (https://github.com/RadeonOpenCompute/llvm-project roc-6.4.0 25133 c7fe45cf4b819c5991fe208aaa96edf142730f1d)"
	.section	".note.GNU-stack","",@progbits
	.addrsig
	.addrsig_sym __hip_cuid_91e83b46687726dc
	.amdgpu_metadata
---
amdhsa.kernels:
  - .args:
      - .actual_access:  read_only
        .address_space:  global
        .offset:         0
        .size:           8
        .value_kind:     global_buffer
      - .actual_access:  read_only
        .address_space:  global
        .offset:         8
        .size:           8
        .value_kind:     global_buffer
      - .actual_access:  read_only
        .address_space:  global
        .offset:         16
        .size:           8
        .value_kind:     global_buffer
      - .actual_access:  read_only
        .address_space:  global
        .offset:         24
        .size:           8
        .value_kind:     global_buffer
      - .actual_access:  read_only
        .address_space:  global
        .offset:         32
        .size:           8
        .value_kind:     global_buffer
      - .offset:         40
        .size:           8
        .value_kind:     by_value
      - .address_space:  global
        .offset:         48
        .size:           8
        .value_kind:     global_buffer
      - .address_space:  global
        .offset:         56
        .size:           8
        .value_kind:     global_buffer
      - .address_space:  global
        .offset:         64
        .size:           8
        .value_kind:     global_buffer
      - .address_space:  global
        .offset:         72
        .size:           8
        .value_kind:     global_buffer
      - .offset:         80
        .size:           4
        .value_kind:     by_value
      - .address_space:  global
        .offset:         88
        .size:           8
        .value_kind:     global_buffer
      - .address_space:  global
        .offset:         96
        .size:           8
        .value_kind:     global_buffer
    .group_segment_fixed_size: 6144
    .kernarg_segment_align: 8
    .kernarg_segment_size: 104
    .language:       OpenCL C
    .language_version:
      - 2
      - 0
    .max_flat_workgroup_size: 128
    .name:           bluestein_single_back_len96_dim1_sp_op_CI_CI
    .private_segment_fixed_size: 0
    .sgpr_count:     24
    .sgpr_spill_count: 0
    .symbol:         bluestein_single_back_len96_dim1_sp_op_CI_CI.kd
    .uniform_work_group_size: 1
    .uses_dynamic_stack: false
    .vgpr_count:     113
    .vgpr_spill_count: 0
    .wavefront_size: 64
amdhsa.target:   amdgcn-amd-amdhsa--gfx906
amdhsa.version:
  - 1
  - 2
...

	.end_amdgpu_metadata
